;; amdgpu-corpus repo=ROCm/hip-tests kind=compiled arch=gfx1250 opt=O3
	.amdgcn_target "amdgcn-amd-amdhsa--gfx1250"
	.amdhsa_code_object_version 6
	.section	.text._ZL11read_kernelP8d_uint16mPj,"axG",@progbits,_ZL11read_kernelP8d_uint16mPj,comdat
	.globl	_ZL11read_kernelP8d_uint16mPj   ; -- Begin function _ZL11read_kernelP8d_uint16mPj
	.p2align	8
	.type	_ZL11read_kernelP8d_uint16mPj,@function
_ZL11read_kernelP8d_uint16mPj:          ; @_ZL11read_kernelP8d_uint16mPj
; %bb.0:
	s_load_b32 s2, s[0:1], 0x24
	s_bfe_u32 s8, ttmp6, 0x4000c
	s_and_b32 s3, ttmp6, 15
	s_add_co_i32 s8, s8, 1
	s_load_b128 s[4:7], s[0:1], 0x0
	s_mul_i32 s10, ttmp9, s8
	s_getreg_b32 s9, hwreg(HW_REG_IB_STS2, 6, 4)
	s_add_co_i32 s10, s3, s10
	v_mov_b32_e32 v1, 0
	s_wait_kmcnt 0x0
	s_and_b32 s8, s2, 0xffff
	s_load_b64 s[2:3], s[0:1], 0x10
	s_cmp_eq_u32 s9, 0
	s_cselect_b32 s9, ttmp9, s10
	s_mov_b32 s10, exec_lo
	v_mad_u32 v0, s9, s8, v0
	s_mov_b32 s9, 0
	s_delay_alu instid0(VALU_DEP_1)
	v_cmpx_gt_u64_e64 s[6:7], v[0:1]
	s_cbranch_execz .LBB0_4
; %bb.1:
	s_wait_xcnt 0x0
	s_add_nc_u64 s[0:1], s[0:1], 24
	v_lshlrev_b64_e32 v[2:3], 6, v[0:1]
	s_load_b32 s0, s[0:1], 0x0
	v_mov_b64_e32 v[4:5], v[0:1]
	s_delay_alu instid0(VALU_DEP_2) | instskip(SKIP_1) | instid1(VALU_DEP_1)
	v_add_nc_u64_e32 v[2:3], s[4:5], v[2:3]
	s_mov_b32 s4, s9
	v_add_nc_u64_e32 v[2:3], 60, v[2:3]
	s_wait_kmcnt 0x0
	s_mul_i32 s8, s0, s8
	s_delay_alu instid0(SALU_CYCLE_1)
	s_lshl_b64 s[0:1], s[8:9], 6
.LBB0_2:                                ; =>This Inner Loop Header: Depth=1
	s_clause 0x3
	global_load_b128 v[6:9], v[2:3], off offset:-60
	global_load_b128 v[10:13], v[2:3], off offset:-44
	;; [unrolled: 1-line block ×4, first 2 shown]
	v_add_nc_u64_e32 v[4:5], s[8:9], v[4:5]
	s_wait_xcnt 0x0
	v_add_nc_u64_e32 v[2:3], s[0:1], v[2:3]
	s_delay_alu instid0(VALU_DEP_2) | instskip(SKIP_3) | instid1(VALU_DEP_1)
	v_cmp_le_u64_e32 vcc_lo, s[6:7], v[4:5]
	s_or_b32 s4, vcc_lo, s4
	s_wait_loadcnt 0x3
	v_add3_u32 v0, v6, v1, v7
	v_add3_u32 v0, v8, v0, v9
	s_wait_loadcnt 0x2
	s_delay_alu instid0(VALU_DEP_1) | instskip(NEXT) | instid1(VALU_DEP_1)
	v_add3_u32 v0, v10, v0, v11
	v_add3_u32 v0, v12, v0, v13
	s_wait_loadcnt 0x1
	s_delay_alu instid0(VALU_DEP_1) | instskip(NEXT) | instid1(VALU_DEP_1)
	v_add3_u32 v0, v14, v0, v15
	v_add3_u32 v0, v16, v0, v17
	s_wait_loadcnt 0x0
	s_delay_alu instid0(VALU_DEP_1) | instskip(NEXT) | instid1(VALU_DEP_1)
	v_add3_u32 v0, v18, v0, v19
	v_add3_u32 v1, v20, v0, v21
	s_and_not1_b32 exec_lo, exec_lo, s4
	s_cbranch_execnz .LBB0_2
; %bb.3:
	s_or_b32 exec_lo, exec_lo, s4
.LBB0_4:
	s_delay_alu instid0(SALU_CYCLE_1)
	s_or_b32 exec_lo, exec_lo, s10
	s_wait_xcnt 0x0
	s_mov_b32 s1, exec_lo
	s_mov_b32 s0, 0
.LBB0_5:                                ; =>This Inner Loop Header: Depth=1
	s_ctz_i32_b32 s4, s1
	s_delay_alu instid0(SALU_CYCLE_1) | instskip(SKIP_1) | instid1(SALU_CYCLE_1)
	v_readlane_b32 s5, v1, s4
	s_lshl_b32 s4, 1, s4
	s_and_not1_b32 s1, s1, s4
	s_add_co_i32 s0, s0, s5
	s_cmp_lg_u32 s1, 0
	s_cbranch_scc1 .LBB0_5
; %bb.6:
	v_mbcnt_lo_u32_b32 v0, exec_lo, 0
	s_mov_b32 s1, exec_lo
	s_delay_alu instid0(VALU_DEP_1)
	v_cmpx_eq_u32_e32 0, v0
	s_xor_b32 s1, exec_lo, s1
	s_cbranch_execz .LBB0_8
; %bb.7:
	v_dual_mov_b32 v0, 0 :: v_dual_mov_b32 v1, s0
	s_wait_kmcnt 0x0
	global_atomic_add_u32 v0, v1, s[2:3] scope:SCOPE_DEV
.LBB0_8:
	s_endpgm
	.section	.rodata,"a",@progbits
	.p2align	6, 0x0
	.amdhsa_kernel _ZL11read_kernelP8d_uint16mPj
		.amdhsa_group_segment_fixed_size 0
		.amdhsa_private_segment_fixed_size 0
		.amdhsa_kernarg_size 280
		.amdhsa_user_sgpr_count 2
		.amdhsa_user_sgpr_dispatch_ptr 0
		.amdhsa_user_sgpr_queue_ptr 0
		.amdhsa_user_sgpr_kernarg_segment_ptr 1
		.amdhsa_user_sgpr_dispatch_id 0
		.amdhsa_user_sgpr_kernarg_preload_length 0
		.amdhsa_user_sgpr_kernarg_preload_offset 0
		.amdhsa_user_sgpr_private_segment_size 0
		.amdhsa_wavefront_size32 1
		.amdhsa_uses_dynamic_stack 0
		.amdhsa_enable_private_segment 0
		.amdhsa_system_sgpr_workgroup_id_x 1
		.amdhsa_system_sgpr_workgroup_id_y 0
		.amdhsa_system_sgpr_workgroup_id_z 0
		.amdhsa_system_sgpr_workgroup_info 0
		.amdhsa_system_vgpr_workitem_id 0
		.amdhsa_next_free_vgpr 22
		.amdhsa_next_free_sgpr 11
		.amdhsa_named_barrier_count 0
		.amdhsa_reserve_vcc 1
		.amdhsa_float_round_mode_32 0
		.amdhsa_float_round_mode_16_64 0
		.amdhsa_float_denorm_mode_32 3
		.amdhsa_float_denorm_mode_16_64 3
		.amdhsa_fp16_overflow 0
		.amdhsa_memory_ordered 1
		.amdhsa_forward_progress 1
		.amdhsa_inst_pref_size 4
		.amdhsa_round_robin_scheduling 0
		.amdhsa_exception_fp_ieee_invalid_op 0
		.amdhsa_exception_fp_denorm_src 0
		.amdhsa_exception_fp_ieee_div_zero 0
		.amdhsa_exception_fp_ieee_overflow 0
		.amdhsa_exception_fp_ieee_underflow 0
		.amdhsa_exception_fp_ieee_inexact 0
		.amdhsa_exception_int_div_zero 0
	.end_amdhsa_kernel
	.section	.text._ZL11read_kernelP8d_uint16mPj,"axG",@progbits,_ZL11read_kernelP8d_uint16mPj,comdat
.Lfunc_end0:
	.size	_ZL11read_kernelP8d_uint16mPj, .Lfunc_end0-_ZL11read_kernelP8d_uint16mPj
                                        ; -- End function
	.set _ZL11read_kernelP8d_uint16mPj.num_vgpr, 22
	.set _ZL11read_kernelP8d_uint16mPj.num_agpr, 0
	.set _ZL11read_kernelP8d_uint16mPj.numbered_sgpr, 11
	.set _ZL11read_kernelP8d_uint16mPj.num_named_barrier, 0
	.set _ZL11read_kernelP8d_uint16mPj.private_seg_size, 0
	.set _ZL11read_kernelP8d_uint16mPj.uses_vcc, 1
	.set _ZL11read_kernelP8d_uint16mPj.uses_flat_scratch, 0
	.set _ZL11read_kernelP8d_uint16mPj.has_dyn_sized_stack, 0
	.set _ZL11read_kernelP8d_uint16mPj.has_recursion, 0
	.set _ZL11read_kernelP8d_uint16mPj.has_indirect_call, 0
	.section	.AMDGPU.csdata,"",@progbits
; Kernel info:
; codeLenInByte = 456
; TotalNumSgprs: 13
; NumVgprs: 22
; ScratchSize: 0
; MemoryBound: 0
; FloatMode: 240
; IeeeMode: 1
; LDSByteSize: 0 bytes/workgroup (compile time only)
; SGPRBlocks: 0
; VGPRBlocks: 1
; NumSGPRsForWavesPerEU: 13
; NumVGPRsForWavesPerEU: 22
; NamedBarCnt: 0
; Occupancy: 16
; WaveLimiterHint : 0
; COMPUTE_PGM_RSRC2:SCRATCH_EN: 0
; COMPUTE_PGM_RSRC2:USER_SGPR: 2
; COMPUTE_PGM_RSRC2:TRAP_HANDLER: 0
; COMPUTE_PGM_RSRC2:TGID_X_EN: 1
; COMPUTE_PGM_RSRC2:TGID_Y_EN: 0
; COMPUTE_PGM_RSRC2:TGID_Z_EN: 0
; COMPUTE_PGM_RSRC2:TIDIG_COMP_CNT: 0
	.section	.AMDGPU.gpr_maximums,"",@progbits
	.set amdgpu.max_num_vgpr, 0
	.set amdgpu.max_num_agpr, 0
	.set amdgpu.max_num_sgpr, 0
	.section	.AMDGPU.csdata,"",@progbits
	.type	__hip_cuid_5e161ddd477d7677,@object ; @__hip_cuid_5e161ddd477d7677
	.section	.bss,"aw",@nobits
	.globl	__hip_cuid_5e161ddd477d7677
__hip_cuid_5e161ddd477d7677:
	.byte	0                               ; 0x0
	.size	__hip_cuid_5e161ddd477d7677, 1

	.ident	"AMD clang version 22.0.0git (https://github.com/RadeonOpenCompute/llvm-project roc-7.2.4 26084 f58b06dce1f9c15707c5f808fd002e18c2accf7e)"
	.section	".note.GNU-stack","",@progbits
	.addrsig
	.addrsig_sym __hip_cuid_5e161ddd477d7677
	.amdgpu_metadata
---
amdhsa.kernels:
  - .args:
      - .address_space:  global
        .offset:         0
        .size:           8
        .value_kind:     global_buffer
      - .offset:         8
        .size:           8
        .value_kind:     by_value
      - .address_space:  global
        .offset:         16
        .size:           8
        .value_kind:     global_buffer
      - .offset:         24
        .size:           4
        .value_kind:     hidden_block_count_x
      - .offset:         28
        .size:           4
        .value_kind:     hidden_block_count_y
      - .offset:         32
        .size:           4
        .value_kind:     hidden_block_count_z
      - .offset:         36
        .size:           2
        .value_kind:     hidden_group_size_x
      - .offset:         38
        .size:           2
        .value_kind:     hidden_group_size_y
      - .offset:         40
        .size:           2
        .value_kind:     hidden_group_size_z
      - .offset:         42
        .size:           2
        .value_kind:     hidden_remainder_x
      - .offset:         44
        .size:           2
        .value_kind:     hidden_remainder_y
      - .offset:         46
        .size:           2
        .value_kind:     hidden_remainder_z
      - .offset:         64
        .size:           8
        .value_kind:     hidden_global_offset_x
      - .offset:         72
        .size:           8
        .value_kind:     hidden_global_offset_y
      - .offset:         80
        .size:           8
        .value_kind:     hidden_global_offset_z
      - .offset:         88
        .size:           2
        .value_kind:     hidden_grid_dims
    .group_segment_fixed_size: 0
    .kernarg_segment_align: 8
    .kernarg_segment_size: 280
    .language:       OpenCL C
    .language_version:
      - 2
      - 0
    .max_flat_workgroup_size: 1024
    .name:           _ZL11read_kernelP8d_uint16mPj
    .private_segment_fixed_size: 0
    .sgpr_count:     13
    .sgpr_spill_count: 0
    .symbol:         _ZL11read_kernelP8d_uint16mPj.kd
    .uniform_work_group_size: 1
    .uses_dynamic_stack: false
    .vgpr_count:     22
    .vgpr_spill_count: 0
    .wavefront_size: 32
amdhsa.target:   amdgcn-amd-amdhsa--gfx1250
amdhsa.version:
  - 1
  - 2
...

	.end_amdgpu_metadata
